;; amdgpu-corpus repo=zjin-lcf/HeCBench kind=compiled arch=gfx950 opt=O3
	.amdgcn_target "amdgcn-amd-amdhsa--gfx950"
	.amdhsa_code_object_version 6
	.section	.text._Z7sosfiltIfEviiiiPKT_S2_PS0_,"axG",@progbits,_Z7sosfiltIfEviiiiPKT_S2_PS0_,comdat
	.protected	_Z7sosfiltIfEviiiiPKT_S2_PS0_ ; -- Begin function _Z7sosfiltIfEviiiiPKT_S2_PS0_
	.globl	_Z7sosfiltIfEviiiiPKT_S2_PS0_
	.p2align	8
	.type	_Z7sosfiltIfEviiiiPKT_S2_PS0_,@function
_Z7sosfiltIfEviiiiPKT_S2_PS0_:          ; @_Z7sosfiltIfEviiiiPKT_S2_PS0_
; %bb.0:
	s_load_dwordx4 s[4:7], s[0:1], 0x0
	s_load_dwordx2 s[8:9], s[0:1], 0x10
	v_lshl_add_u32 v6, v0, 2, 0
	v_mov_b32_e32 v1, 0
	s_mov_b32 s10, 0
	s_waitcnt lgkmcnt(0)
	s_lshl_b32 s3, s6, 2
	s_add_i32 s16, s3, 0
	ds_write_b32 v6, v1
	s_cmp_lt_i32 s7, 1
	v_mul_lo_u32 v1, s7, v0
	s_cbranch_scc1 .LBB0_8
; %bb.1:
	s_load_dwordx2 s[12:13], s[0:1], 0x18
	s_mul_i32 s3, s6, s2
	v_add_u32_e32 v2, s3, v0
	v_mul_lo_u32 v2, v2, s7
	s_cmp_eq_u32 s7, 1
	s_mov_b64 s[14:15], -1
	s_cbranch_scc1 .LBB0_5
; %bb.2:
	s_and_b32 s10, s7, 0x7ffffffe
	v_lshl_add_u32 v3, v1, 2, s16
	v_mov_b32_e32 v4, v2
	s_mov_b32 s3, s10
.LBB0_3:                                ; =>This Inner Loop Header: Depth=1
	v_ashrrev_i32_e32 v5, 31, v4
	s_waitcnt lgkmcnt(0)
	v_lshl_add_u64 v[8:9], v[4:5], 2, s[12:13]
	global_load_dwordx2 v[8:9], v[8:9], off
	s_add_i32 s3, s3, -2
	v_add_u32_e32 v4, 2, v4
	s_cmp_lg_u32 s3, 0
	s_waitcnt vmcnt(0)
	ds_write2_b32 v3, v8, v9 offset1:1
	v_add_u32_e32 v3, 8, v3
	s_cbranch_scc1 .LBB0_3
; %bb.4:
	s_cmp_lg_u32 s7, s10
	s_cselect_b64 s[14:15], -1, 0
.LBB0_5:
	s_and_b64 vcc, exec, s[14:15]
	s_cbranch_vccz .LBB0_8
; %bb.6:
	v_ashrrev_i32_e32 v3, 31, v2
	s_mov_b32 s11, 0
	s_sub_i32 s3, s7, s10
	v_lshl_add_u64 v[2:3], v[2:3], 0, s[10:11]
	s_lshl_b32 s10, s10, 2
	s_add_i32 s10, s16, s10
	s_waitcnt lgkmcnt(0)
	v_lshl_add_u64 v[2:3], v[2:3], 2, s[12:13]
	v_lshl_add_u32 v4, v1, 2, s10
.LBB0_7:                                ; =>This Inner Loop Header: Depth=1
	global_load_dword v5, v[2:3], off
	s_add_i32 s3, s3, -1
	v_lshl_add_u64 v[2:3], v[2:3], 0, 4
	s_cmp_eq_u32 s3, 0
	s_waitcnt vmcnt(0)
	ds_write_b32 v4, v5
	v_add_u32_e32 v4, 4, v4
	s_cbranch_scc0 .LBB0_7
.LBB0_8:
	v_mul_u32_u24_e32 v2, 6, v0
	v_lshlrev_b32_e32 v7, 2, v2
	global_load_dwordx4 v[2:5], v7, s[8:9]
	global_load_dwordx2 v[8:9], v7, s[8:9] offset:16
	s_mul_i32 s3, s7, s6
	s_lshl_b32 s3, s3, 2
	s_add_i32 s3, s16, s3
	v_add_u32_e32 v7, s3, v7
	s_cmp_lt_i32 s2, s4
	s_waitcnt vmcnt(1)
	ds_write2_b32 v7, v2, v3 offset1:1
	ds_write2_b32 v7, v4, v5 offset0:2 offset1:3
	s_waitcnt vmcnt(0)
	ds_write2_b32 v7, v8, v9 offset0:4 offset1:5
	s_waitcnt lgkmcnt(0)
	s_barrier
	s_cbranch_scc0 .LBB0_27
; %bb.9:
	s_load_dwordx2 s[8:9], s[0:1], 0x20
	s_add_i32 s4, s6, -1
	s_cmp_lt_i32 s6, 2
	v_add_u32_e32 v2, -4, v6
	v_mul_u32_u24_e32 v4, 24, v0
	v_lshl_add_u32 v3, v1, 2, s16
	s_cbranch_scc1 .LBB0_12
; %bb.10:
	s_mov_b64 s[0:1], src_shared_base
	v_cmp_eq_u32_e32 vcc, 0, v0
	v_mov_b32_e32 v1, s1
	s_mul_i32 s0, s5, s2
	v_add_u32_e32 v5, s3, v4
	s_mov_b32 s7, s4
.LBB0_11:                               ; =>This Inner Loop Header: Depth=1
	s_ashr_i32 s1, s0, 31
	s_lshl_b64 s[10:11], s[0:1], 2
	s_waitcnt lgkmcnt(0)
	s_add_u32 s1, s8, s10
	s_addc_u32 s10, s9, s11
	v_mov_b32_e32 v7, s10
	v_cndmask_b32_e32 v9, v1, v7, vcc
	v_mov_b32_e32 v7, s1
	v_cndmask_b32_e32 v8, v2, v7, vcc
	flat_load_dword v7, v[8:9]
	ds_read2_b32 v[8:9], v3 offset1:1
	ds_read2_b32 v[10:11], v5 offset1:1
	ds_read_b32 v12, v5 offset:16
	s_add_i32 s7, s7, -1
	s_add_i32 s0, s0, 1
	s_cmp_eq_u32 s7, 0
	s_waitcnt vmcnt(0) lgkmcnt(0)
	v_fma_f32 v8, v7, v10, v8
	v_mul_f32_e32 v10, v8, v12
	v_fma_f32 v10, v7, v11, -v10
	v_add_f32_e32 v9, v9, v10
	ds_write_b32 v3, v9
	ds_read_b32 v9, v5 offset:20
	ds_read_b32 v10, v5 offset:8
	s_waitcnt lgkmcnt(1)
	v_mul_f32_e32 v9, v8, v9
	s_waitcnt lgkmcnt(0)
	v_fma_f32 v7, v7, v10, -v9
	ds_write_b32 v3, v7 offset:4
	ds_write_b32 v6, v8
	s_waitcnt lgkmcnt(0)
	s_barrier
	s_cbranch_scc0 .LBB0_11
.LBB0_12:
	s_cmp_gt_i32 s6, s5
	v_cmp_le_i32_e32 vcc, s4, v0
	s_cbranch_scc1 .LBB0_19
; %bb.13:
	s_mov_b64 s[10:11], src_shared_base
	s_mul_i32 s12, s5, s2
	s_mov_b32 s7, 0
	v_cmp_eq_u32_e64 s[0:1], 0, v0
	v_mov_b32_e32 v1, s11
	s_add_i32 s13, s12, s4
	v_add_u32_e32 v5, s3, v4
	v_mov_b32_e32 v7, 0
	s_branch .LBB0_15
.LBB0_14:                               ;   in Loop: Header=BB0_15 Depth=1
	s_or_b64 exec, exec, s[10:11]
	s_add_i32 s7, s7, 1
	s_add_i32 s10, s4, s7
	s_cmp_ge_i32 s10, s5
	s_waitcnt lgkmcnt(0)
	s_barrier
	s_cbranch_scc1 .LBB0_19
.LBB0_15:                               ; =>This Inner Loop Header: Depth=1
	s_add_i32 s10, s13, s7
	s_ashr_i32 s11, s10, 31
	s_lshl_b64 s[10:11], s[10:11], 2
	s_waitcnt lgkmcnt(0)
	s_add_u32 s10, s8, s10
	s_addc_u32 s11, s9, s11
	v_mov_b32_e32 v8, s11
	v_cndmask_b32_e64 v9, v1, v8, s[0:1]
	v_mov_b32_e32 v8, s10
	v_cndmask_b32_e64 v8, v2, v8, s[0:1]
	flat_load_dword v12, v[8:9]
	ds_read2_b32 v[8:9], v3 offset1:1
	ds_read2_b32 v[10:11], v5 offset1:1
	ds_read_b32 v13, v5 offset:16
	s_waitcnt vmcnt(0) lgkmcnt(0)
	v_fma_f32 v8, v12, v10, v8
	v_mul_f32_e32 v10, v8, v13
	v_fma_f32 v10, v12, v11, -v10
	v_add_f32_e32 v9, v9, v10
	ds_write_b32 v3, v9
	ds_read_b32 v9, v5 offset:20
	ds_read_b32 v10, v5 offset:8
	s_waitcnt lgkmcnt(1)
	v_mul_f32_e32 v9, v8, v9
	s_waitcnt lgkmcnt(0)
	v_fma_f32 v9, v12, v10, -v9
	ds_write_b32 v3, v9 offset:4
	s_and_saveexec_b64 s[10:11], vcc
	s_xor_b64 s[10:11], exec, s[10:11]
	s_cbranch_execz .LBB0_17
; %bb.16:                               ;   in Loop: Header=BB0_15 Depth=1
	s_add_i32 s14, s12, s7
	s_ashr_i32 s15, s14, 31
	s_lshl_b64 s[14:15], s[14:15], 2
	s_add_u32 s14, s8, s14
	s_addc_u32 s15, s9, s15
	global_store_dword v7, v8, s[14:15]
                                        ; implicit-def: $vgpr8
.LBB0_17:                               ;   in Loop: Header=BB0_15 Depth=1
	s_andn2_saveexec_b64 s[10:11], s[10:11]
	s_cbranch_execz .LBB0_14
; %bb.18:                               ;   in Loop: Header=BB0_15 Depth=1
	ds_write_b32 v6, v8
	s_branch .LBB0_14
.LBB0_19:
	s_cmp_lt_i32 s6, 1
	s_cbranch_scc1 .LBB0_27
; %bb.20:
	s_add_i32 s2, s2, 1
	s_mul_i32 s0, s5, s2
	v_cmp_le_i32_e32 vcc, s4, v0
	s_sub_i32 s4, s0, s6
	s_add_i32 s4, s4, 1
	s_mov_b32 s5, 0
	v_add_u32_e32 v1, s3, v4
	v_mov_b32_e32 v4, 0
	s_branch .LBB0_22
.LBB0_21:                               ;   in Loop: Header=BB0_22 Depth=1
	s_or_b64 exec, exec, s[2:3]
	s_add_i32 s5, s5, 1
	s_cmp_lg_u32 s6, s5
	s_waitcnt lgkmcnt(0)
	s_barrier
	s_cbranch_scc0 .LBB0_27
.LBB0_22:                               ; =>This Inner Loop Header: Depth=1
	v_cmp_lt_u32_e64 s[0:1], s5, v0
	s_and_saveexec_b64 s[2:3], s[0:1]
	s_cbranch_execz .LBB0_21
; %bb.23:                               ;   in Loop: Header=BB0_22 Depth=1
	ds_read_b32 v7, v2
	ds_read2_b32 v[8:9], v1 offset1:1
	ds_read2_b32 v[10:11], v3 offset1:1
	ds_read_b32 v12, v1 offset:16
	s_waitcnt lgkmcnt(0)
	v_fma_f32 v5, v7, v8, v10
	v_mul_f32_e32 v8, v5, v12
	v_fma_f32 v8, v7, v9, -v8
	v_add_f32_e32 v8, v11, v8
	ds_write_b32 v3, v8
	ds_read_b32 v8, v1 offset:20
	ds_read_b32 v9, v1 offset:8
	s_waitcnt lgkmcnt(1)
	v_mul_f32_e32 v8, v5, v8
	s_waitcnt lgkmcnt(0)
	v_fma_f32 v7, v7, v9, -v8
	ds_write_b32 v3, v7 offset:4
	s_and_saveexec_b64 s[0:1], vcc
	s_xor_b64 s[0:1], exec, s[0:1]
	s_cbranch_execz .LBB0_25
; %bb.24:                               ;   in Loop: Header=BB0_22 Depth=1
	s_add_i32 s10, s4, s5
	s_ashr_i32 s11, s10, 31
	s_lshl_b64 s[10:11], s[10:11], 2
	s_add_u32 s10, s8, s10
	s_addc_u32 s11, s9, s11
	global_store_dword v4, v5, s[10:11]
                                        ; implicit-def: $vgpr5
.LBB0_25:                               ;   in Loop: Header=BB0_22 Depth=1
	s_andn2_saveexec_b64 s[0:1], s[0:1]
	s_cbranch_execz .LBB0_21
; %bb.26:                               ;   in Loop: Header=BB0_22 Depth=1
	ds_write_b32 v6, v5
	s_branch .LBB0_21
.LBB0_27:
	s_endpgm
	.section	.rodata,"a",@progbits
	.p2align	6, 0x0
	.amdhsa_kernel _Z7sosfiltIfEviiiiPKT_S2_PS0_
		.amdhsa_group_segment_fixed_size 0
		.amdhsa_private_segment_fixed_size 0
		.amdhsa_kernarg_size 40
		.amdhsa_user_sgpr_count 2
		.amdhsa_user_sgpr_dispatch_ptr 0
		.amdhsa_user_sgpr_queue_ptr 0
		.amdhsa_user_sgpr_kernarg_segment_ptr 1
		.amdhsa_user_sgpr_dispatch_id 0
		.amdhsa_user_sgpr_kernarg_preload_length 0
		.amdhsa_user_sgpr_kernarg_preload_offset 0
		.amdhsa_user_sgpr_private_segment_size 0
		.amdhsa_uses_dynamic_stack 0
		.amdhsa_enable_private_segment 0
		.amdhsa_system_sgpr_workgroup_id_x 1
		.amdhsa_system_sgpr_workgroup_id_y 0
		.amdhsa_system_sgpr_workgroup_id_z 0
		.amdhsa_system_sgpr_workgroup_info 0
		.amdhsa_system_vgpr_workitem_id 0
		.amdhsa_next_free_vgpr 14
		.amdhsa_next_free_sgpr 17
		.amdhsa_accum_offset 16
		.amdhsa_reserve_vcc 1
		.amdhsa_float_round_mode_32 0
		.amdhsa_float_round_mode_16_64 0
		.amdhsa_float_denorm_mode_32 3
		.amdhsa_float_denorm_mode_16_64 3
		.amdhsa_dx10_clamp 1
		.amdhsa_ieee_mode 1
		.amdhsa_fp16_overflow 0
		.amdhsa_tg_split 0
		.amdhsa_exception_fp_ieee_invalid_op 0
		.amdhsa_exception_fp_denorm_src 0
		.amdhsa_exception_fp_ieee_div_zero 0
		.amdhsa_exception_fp_ieee_overflow 0
		.amdhsa_exception_fp_ieee_underflow 0
		.amdhsa_exception_fp_ieee_inexact 0
		.amdhsa_exception_int_div_zero 0
	.end_amdhsa_kernel
	.section	.text._Z7sosfiltIfEviiiiPKT_S2_PS0_,"axG",@progbits,_Z7sosfiltIfEviiiiPKT_S2_PS0_,comdat
.Lfunc_end0:
	.size	_Z7sosfiltIfEviiiiPKT_S2_PS0_, .Lfunc_end0-_Z7sosfiltIfEviiiiPKT_S2_PS0_
                                        ; -- End function
	.set _Z7sosfiltIfEviiiiPKT_S2_PS0_.num_vgpr, 14
	.set _Z7sosfiltIfEviiiiPKT_S2_PS0_.num_agpr, 0
	.set _Z7sosfiltIfEviiiiPKT_S2_PS0_.numbered_sgpr, 17
	.set _Z7sosfiltIfEviiiiPKT_S2_PS0_.num_named_barrier, 0
	.set _Z7sosfiltIfEviiiiPKT_S2_PS0_.private_seg_size, 0
	.set _Z7sosfiltIfEviiiiPKT_S2_PS0_.uses_vcc, 1
	.set _Z7sosfiltIfEviiiiPKT_S2_PS0_.uses_flat_scratch, 0
	.set _Z7sosfiltIfEviiiiPKT_S2_PS0_.has_dyn_sized_stack, 0
	.set _Z7sosfiltIfEviiiiPKT_S2_PS0_.has_recursion, 0
	.set _Z7sosfiltIfEviiiiPKT_S2_PS0_.has_indirect_call, 0
	.section	.AMDGPU.csdata,"",@progbits
; Kernel info:
; codeLenInByte = 1180
; TotalNumSgprs: 23
; NumVgprs: 14
; NumAgprs: 0
; TotalNumVgprs: 14
; ScratchSize: 0
; MemoryBound: 0
; FloatMode: 240
; IeeeMode: 1
; LDSByteSize: 0 bytes/workgroup (compile time only)
; SGPRBlocks: 2
; VGPRBlocks: 1
; NumSGPRsForWavesPerEU: 23
; NumVGPRsForWavesPerEU: 14
; AccumOffset: 16
; Occupancy: 8
; WaveLimiterHint : 0
; COMPUTE_PGM_RSRC2:SCRATCH_EN: 0
; COMPUTE_PGM_RSRC2:USER_SGPR: 2
; COMPUTE_PGM_RSRC2:TRAP_HANDLER: 0
; COMPUTE_PGM_RSRC2:TGID_X_EN: 1
; COMPUTE_PGM_RSRC2:TGID_Y_EN: 0
; COMPUTE_PGM_RSRC2:TGID_Z_EN: 0
; COMPUTE_PGM_RSRC2:TIDIG_COMP_CNT: 0
; COMPUTE_PGM_RSRC3_GFX90A:ACCUM_OFFSET: 3
; COMPUTE_PGM_RSRC3_GFX90A:TG_SPLIT: 0
	.section	.text._Z7sosfiltIdEviiiiPKT_S2_PS0_,"axG",@progbits,_Z7sosfiltIdEviiiiPKT_S2_PS0_,comdat
	.protected	_Z7sosfiltIdEviiiiPKT_S2_PS0_ ; -- Begin function _Z7sosfiltIdEviiiiPKT_S2_PS0_
	.globl	_Z7sosfiltIdEviiiiPKT_S2_PS0_
	.p2align	8
	.type	_Z7sosfiltIdEviiiiPKT_S2_PS0_,@function
_Z7sosfiltIdEviiiiPKT_S2_PS0_:          ; @_Z7sosfiltIdEviiiiPKT_S2_PS0_
; %bb.0:
	s_load_dwordx4 s[4:7], s[0:1], 0x0
	s_load_dwordx2 s[8:9], s[0:1], 0x10
	v_mov_b32_e32 v2, 0
	v_lshl_add_u32 v7, v0, 3, 0
	v_mov_b32_e32 v3, v2
	s_waitcnt lgkmcnt(0)
	s_lshl_b32 s3, s6, 3
	s_add_i32 s3, s3, 0
	v_mul_lo_u32 v1, s7, v0
	s_cmp_lt_i32 s7, 1
	v_lshl_add_u32 v8, v1, 3, s3
	ds_write_b64 v7, v[2:3]
	s_cbranch_scc1 .LBB1_3
; %bb.1:
	s_load_dwordx2 s[10:11], s[0:1], 0x18
	s_mul_i32 s12, s6, s2
	v_add_u32_e32 v1, s12, v0
	v_mul_lo_u32 v2, v1, s7
	v_ashrrev_i32_e32 v3, 31, v2
	s_waitcnt lgkmcnt(0)
	v_lshl_add_u64 v[2:3], v[2:3], 3, s[10:11]
	v_mov_b32_e32 v1, v8
	s_mov_b32 s10, s7
.LBB1_2:                                ; =>This Inner Loop Header: Depth=1
	global_load_dwordx2 v[4:5], v[2:3], off
	s_add_i32 s10, s10, -1
	v_lshl_add_u64 v[2:3], v[2:3], 0, 8
	s_cmp_eq_u32 s10, 0
	s_waitcnt vmcnt(0)
	ds_write_b64 v1, v[4:5]
	v_add_u32_e32 v1, 8, v1
	s_cbranch_scc0 .LBB1_2
.LBB1_3:
	v_mul_u32_u24_e32 v1, 6, v0
	v_lshlrev_b32_e32 v1, 3, v1
	global_load_dwordx4 v[2:5], v1, s[8:9]
	global_load_dwordx4 v[10:13], v1, s[8:9] offset:16
	global_load_dwordx4 v[14:17], v1, s[8:9] offset:32
	s_mul_i32 s7, s7, s6
	s_lshl_b32 s7, s7, 3
	s_add_i32 s3, s3, s7
	v_add_u32_e32 v1, s3, v1
	s_cmp_lt_i32 s2, s4
	s_waitcnt vmcnt(2)
	ds_write2_b64 v1, v[2:3], v[4:5] offset1:1
	s_waitcnt vmcnt(1)
	ds_write2_b64 v1, v[10:11], v[12:13] offset0:2 offset1:3
	s_waitcnt vmcnt(0)
	ds_write2_b64 v1, v[14:15], v[16:17] offset0:4 offset1:5
	s_waitcnt lgkmcnt(0)
	s_barrier
	s_cbranch_scc0 .LBB1_22
; %bb.4:
	s_load_dwordx2 s[8:9], s[0:1], 0x20
	s_add_i32 s4, s6, -1
	s_cmp_lt_i32 s6, 2
	v_add_u32_e32 v6, -8, v7
	v_mul_u32_u24_e32 v9, 48, v0
	s_cbranch_scc1 .LBB1_7
; %bb.5:
	s_mov_b64 s[0:1], src_shared_base
	v_cmp_eq_u32_e32 vcc, 0, v0
	v_mov_b32_e32 v1, s1
	s_mul_i32 s0, s5, s2
	v_add_u32_e32 v2, s3, v9
	s_mov_b32 s7, s4
.LBB1_6:                                ; =>This Inner Loop Header: Depth=1
	s_ashr_i32 s1, s0, 31
	s_lshl_b64 s[10:11], s[0:1], 3
	s_waitcnt lgkmcnt(0)
	s_add_u32 s1, s8, s10
	s_addc_u32 s10, s9, s11
	v_mov_b32_e32 v3, s10
	v_cndmask_b32_e32 v5, v1, v3, vcc
	v_mov_b32_e32 v3, s1
	v_cndmask_b32_e32 v4, v6, v3, vcc
	flat_load_dwordx2 v[4:5], v[4:5]
	ds_read2_b64 v[10:13], v8 offset1:1
	ds_read2_b64 v[14:17], v2 offset1:1
	ds_read_b64 v[18:19], v2 offset:32
	s_add_i32 s7, s7, -1
	s_add_i32 s0, s0, 1
	s_cmp_eq_u32 s7, 0
	s_waitcnt vmcnt(0) lgkmcnt(0)
	v_fmac_f64_e32 v[10:11], v[4:5], v[14:15]
	v_mul_f64 v[14:15], v[10:11], v[18:19]
	v_fma_f64 v[14:15], v[4:5], v[16:17], -v[14:15]
	v_add_f64 v[12:13], v[12:13], v[14:15]
	ds_write_b64 v8, v[12:13]
	ds_read_b64 v[12:13], v2 offset:40
	ds_read_b64 v[14:15], v2 offset:16
	s_waitcnt lgkmcnt(1)
	v_mul_f64 v[12:13], v[10:11], v[12:13]
	s_waitcnt lgkmcnt(0)
	v_fma_f64 v[4:5], v[4:5], v[14:15], -v[12:13]
	ds_write_b64 v8, v[4:5] offset:8
	ds_write_b64 v7, v[10:11]
	s_waitcnt lgkmcnt(0)
	s_barrier
	s_cbranch_scc0 .LBB1_6
.LBB1_7:
	s_cmp_gt_i32 s6, s5
	v_cmp_le_i32_e32 vcc, s4, v0
	s_cbranch_scc1 .LBB1_14
; %bb.8:
	s_mov_b64 s[10:11], src_shared_base
	s_mul_i32 s12, s5, s2
	s_mov_b32 s7, 0
	v_cmp_eq_u32_e64 s[0:1], 0, v0
	v_mov_b32_e32 v1, s11
	s_add_i32 s13, s12, s4
	v_add_u32_e32 v10, s3, v9
	v_mov_b32_e32 v11, 0
	s_branch .LBB1_10
.LBB1_9:                                ;   in Loop: Header=BB1_10 Depth=1
	s_or_b64 exec, exec, s[10:11]
	s_add_i32 s7, s7, 1
	s_add_i32 s10, s4, s7
	s_cmp_ge_i32 s10, s5
	s_waitcnt lgkmcnt(0)
	s_barrier
	s_cbranch_scc1 .LBB1_14
.LBB1_10:                               ; =>This Inner Loop Header: Depth=1
	s_add_i32 s10, s13, s7
	s_ashr_i32 s11, s10, 31
	s_lshl_b64 s[10:11], s[10:11], 3
	s_waitcnt lgkmcnt(0)
	s_add_u32 s10, s8, s10
	s_addc_u32 s11, s9, s11
	v_mov_b32_e32 v2, s11
	v_cndmask_b32_e64 v3, v1, v2, s[0:1]
	v_mov_b32_e32 v2, s10
	v_cndmask_b32_e64 v2, v6, v2, s[0:1]
	flat_load_dwordx2 v[16:17], v[2:3]
	ds_read2_b64 v[2:5], v8 offset1:1
	ds_read2_b64 v[12:15], v10 offset1:1
	ds_read_b64 v[18:19], v10 offset:32
	s_waitcnt vmcnt(0) lgkmcnt(0)
	v_fmac_f64_e32 v[2:3], v[16:17], v[12:13]
	v_mul_f64 v[12:13], v[2:3], v[18:19]
	v_fma_f64 v[12:13], v[16:17], v[14:15], -v[12:13]
	v_add_f64 v[4:5], v[4:5], v[12:13]
	ds_write_b64 v8, v[4:5]
	ds_read_b64 v[4:5], v10 offset:40
	ds_read_b64 v[12:13], v10 offset:16
	s_waitcnt lgkmcnt(1)
	v_mul_f64 v[4:5], v[2:3], v[4:5]
	s_waitcnt lgkmcnt(0)
	v_fma_f64 v[4:5], v[16:17], v[12:13], -v[4:5]
	ds_write_b64 v8, v[4:5] offset:8
	s_and_saveexec_b64 s[10:11], vcc
	s_xor_b64 s[10:11], exec, s[10:11]
	s_cbranch_execz .LBB1_12
; %bb.11:                               ;   in Loop: Header=BB1_10 Depth=1
	s_add_i32 s14, s12, s7
	s_ashr_i32 s15, s14, 31
	s_lshl_b64 s[14:15], s[14:15], 3
	s_add_u32 s14, s8, s14
	s_addc_u32 s15, s9, s15
	global_store_dwordx2 v11, v[2:3], s[14:15]
                                        ; implicit-def: $vgpr2_vgpr3
.LBB1_12:                               ;   in Loop: Header=BB1_10 Depth=1
	s_andn2_saveexec_b64 s[10:11], s[10:11]
	s_cbranch_execz .LBB1_9
; %bb.13:                               ;   in Loop: Header=BB1_10 Depth=1
	ds_write_b64 v7, v[2:3]
	s_branch .LBB1_9
.LBB1_14:
	s_cmp_lt_i32 s6, 1
	s_cbranch_scc1 .LBB1_22
; %bb.15:
	s_add_i32 s2, s2, 1
	s_mul_i32 s0, s5, s2
	v_cmp_le_i32_e32 vcc, s4, v0
	s_sub_i32 s4, s0, s6
	s_add_i32 s4, s4, 1
	s_mov_b32 s5, 0
	v_add_u32_e32 v1, s3, v9
	v_mov_b32_e32 v9, 0
	s_branch .LBB1_17
.LBB1_16:                               ;   in Loop: Header=BB1_17 Depth=1
	s_or_b64 exec, exec, s[2:3]
	s_add_i32 s5, s5, 1
	s_cmp_lg_u32 s6, s5
	s_waitcnt lgkmcnt(0)
	s_barrier
	s_cbranch_scc0 .LBB1_22
.LBB1_17:                               ; =>This Inner Loop Header: Depth=1
	v_cmp_lt_u32_e64 s[0:1], s5, v0
	s_and_saveexec_b64 s[2:3], s[0:1]
	s_cbranch_execz .LBB1_16
; %bb.18:                               ;   in Loop: Header=BB1_17 Depth=1
	ds_read_b64 v[14:15], v6
	ds_read2_b64 v[2:5], v8 offset1:1
	ds_read2_b64 v[10:13], v1 offset1:1
	ds_read_b64 v[16:17], v1 offset:32
	s_waitcnt lgkmcnt(0)
	v_fmac_f64_e32 v[2:3], v[14:15], v[10:11]
	v_mul_f64 v[10:11], v[2:3], v[16:17]
	v_fma_f64 v[10:11], v[14:15], v[12:13], -v[10:11]
	v_add_f64 v[4:5], v[4:5], v[10:11]
	ds_write_b64 v8, v[4:5]
	ds_read_b64 v[4:5], v1 offset:40
	ds_read_b64 v[10:11], v1 offset:16
	s_waitcnt lgkmcnt(1)
	v_mul_f64 v[4:5], v[2:3], v[4:5]
	s_waitcnt lgkmcnt(0)
	v_fma_f64 v[4:5], v[14:15], v[10:11], -v[4:5]
	ds_write_b64 v8, v[4:5] offset:8
	s_and_saveexec_b64 s[0:1], vcc
	s_xor_b64 s[0:1], exec, s[0:1]
	s_cbranch_execz .LBB1_20
; %bb.19:                               ;   in Loop: Header=BB1_17 Depth=1
	s_add_i32 s10, s4, s5
	s_ashr_i32 s11, s10, 31
	s_lshl_b64 s[10:11], s[10:11], 3
	s_add_u32 s10, s8, s10
	s_addc_u32 s11, s9, s11
	global_store_dwordx2 v9, v[2:3], s[10:11]
                                        ; implicit-def: $vgpr2_vgpr3
.LBB1_20:                               ;   in Loop: Header=BB1_17 Depth=1
	s_andn2_saveexec_b64 s[0:1], s[0:1]
	s_cbranch_execz .LBB1_16
; %bb.21:                               ;   in Loop: Header=BB1_17 Depth=1
	ds_write_b64 v7, v[2:3]
	s_branch .LBB1_16
.LBB1_22:
	s_endpgm
	.section	.rodata,"a",@progbits
	.p2align	6, 0x0
	.amdhsa_kernel _Z7sosfiltIdEviiiiPKT_S2_PS0_
		.amdhsa_group_segment_fixed_size 0
		.amdhsa_private_segment_fixed_size 0
		.amdhsa_kernarg_size 40
		.amdhsa_user_sgpr_count 2
		.amdhsa_user_sgpr_dispatch_ptr 0
		.amdhsa_user_sgpr_queue_ptr 0
		.amdhsa_user_sgpr_kernarg_segment_ptr 1
		.amdhsa_user_sgpr_dispatch_id 0
		.amdhsa_user_sgpr_kernarg_preload_length 0
		.amdhsa_user_sgpr_kernarg_preload_offset 0
		.amdhsa_user_sgpr_private_segment_size 0
		.amdhsa_uses_dynamic_stack 0
		.amdhsa_enable_private_segment 0
		.amdhsa_system_sgpr_workgroup_id_x 1
		.amdhsa_system_sgpr_workgroup_id_y 0
		.amdhsa_system_sgpr_workgroup_id_z 0
		.amdhsa_system_sgpr_workgroup_info 0
		.amdhsa_system_vgpr_workitem_id 0
		.amdhsa_next_free_vgpr 20
		.amdhsa_next_free_sgpr 16
		.amdhsa_accum_offset 20
		.amdhsa_reserve_vcc 1
		.amdhsa_float_round_mode_32 0
		.amdhsa_float_round_mode_16_64 0
		.amdhsa_float_denorm_mode_32 3
		.amdhsa_float_denorm_mode_16_64 3
		.amdhsa_dx10_clamp 1
		.amdhsa_ieee_mode 1
		.amdhsa_fp16_overflow 0
		.amdhsa_tg_split 0
		.amdhsa_exception_fp_ieee_invalid_op 0
		.amdhsa_exception_fp_denorm_src 0
		.amdhsa_exception_fp_ieee_div_zero 0
		.amdhsa_exception_fp_ieee_overflow 0
		.amdhsa_exception_fp_ieee_underflow 0
		.amdhsa_exception_fp_ieee_inexact 0
		.amdhsa_exception_int_div_zero 0
	.end_amdhsa_kernel
	.section	.text._Z7sosfiltIdEviiiiPKT_S2_PS0_,"axG",@progbits,_Z7sosfiltIdEviiiiPKT_S2_PS0_,comdat
.Lfunc_end1:
	.size	_Z7sosfiltIdEviiiiPKT_S2_PS0_, .Lfunc_end1-_Z7sosfiltIdEviiiiPKT_S2_PS0_
                                        ; -- End function
	.set _Z7sosfiltIdEviiiiPKT_S2_PS0_.num_vgpr, 20
	.set _Z7sosfiltIdEviiiiPKT_S2_PS0_.num_agpr, 0
	.set _Z7sosfiltIdEviiiiPKT_S2_PS0_.numbered_sgpr, 16
	.set _Z7sosfiltIdEviiiiPKT_S2_PS0_.num_named_barrier, 0
	.set _Z7sosfiltIdEviiiiPKT_S2_PS0_.private_seg_size, 0
	.set _Z7sosfiltIdEviiiiPKT_S2_PS0_.uses_vcc, 1
	.set _Z7sosfiltIdEviiiiPKT_S2_PS0_.uses_flat_scratch, 0
	.set _Z7sosfiltIdEviiiiPKT_S2_PS0_.has_dyn_sized_stack, 0
	.set _Z7sosfiltIdEviiiiPKT_S2_PS0_.has_recursion, 0
	.set _Z7sosfiltIdEviiiiPKT_S2_PS0_.has_indirect_call, 0
	.section	.AMDGPU.csdata,"",@progbits
; Kernel info:
; codeLenInByte = 1084
; TotalNumSgprs: 22
; NumVgprs: 20
; NumAgprs: 0
; TotalNumVgprs: 20
; ScratchSize: 0
; MemoryBound: 0
; FloatMode: 240
; IeeeMode: 1
; LDSByteSize: 0 bytes/workgroup (compile time only)
; SGPRBlocks: 2
; VGPRBlocks: 2
; NumSGPRsForWavesPerEU: 22
; NumVGPRsForWavesPerEU: 20
; AccumOffset: 20
; Occupancy: 8
; WaveLimiterHint : 0
; COMPUTE_PGM_RSRC2:SCRATCH_EN: 0
; COMPUTE_PGM_RSRC2:USER_SGPR: 2
; COMPUTE_PGM_RSRC2:TRAP_HANDLER: 0
; COMPUTE_PGM_RSRC2:TGID_X_EN: 1
; COMPUTE_PGM_RSRC2:TGID_Y_EN: 0
; COMPUTE_PGM_RSRC2:TGID_Z_EN: 0
; COMPUTE_PGM_RSRC2:TIDIG_COMP_CNT: 0
; COMPUTE_PGM_RSRC3_GFX90A:ACCUM_OFFSET: 4
; COMPUTE_PGM_RSRC3_GFX90A:TG_SPLIT: 0
	.section	.AMDGPU.gpr_maximums,"",@progbits
	.set amdgpu.max_num_vgpr, 0
	.set amdgpu.max_num_agpr, 0
	.set amdgpu.max_num_sgpr, 0
	.section	.AMDGPU.csdata,"",@progbits
	.type	__hip_cuid_3066490d2b87c988,@object ; @__hip_cuid_3066490d2b87c988
	.section	.bss,"aw",@nobits
	.globl	__hip_cuid_3066490d2b87c988
__hip_cuid_3066490d2b87c988:
	.byte	0                               ; 0x0
	.size	__hip_cuid_3066490d2b87c988, 1

	.ident	"AMD clang version 22.0.0git (https://github.com/RadeonOpenCompute/llvm-project roc-7.2.4 26084 f58b06dce1f9c15707c5f808fd002e18c2accf7e)"
	.section	".note.GNU-stack","",@progbits
	.addrsig
	.addrsig_sym __hip_cuid_3066490d2b87c988
	.amdgpu_metadata
---
amdhsa.kernels:
  - .agpr_count:     0
    .args:
      - .offset:         0
        .size:           4
        .value_kind:     by_value
      - .offset:         4
        .size:           4
        .value_kind:     by_value
      - .offset:         8
        .size:           4
        .value_kind:     by_value
      - .offset:         12
        .size:           4
        .value_kind:     by_value
      - .actual_access:  read_only
        .address_space:  global
        .offset:         16
        .size:           8
        .value_kind:     global_buffer
      - .actual_access:  read_only
        .address_space:  global
        .offset:         24
        .size:           8
        .value_kind:     global_buffer
      - .address_space:  global
        .offset:         32
        .size:           8
        .value_kind:     global_buffer
    .group_segment_fixed_size: 0
    .kernarg_segment_align: 8
    .kernarg_segment_size: 40
    .language:       OpenCL C
    .language_version:
      - 2
      - 0
    .max_flat_workgroup_size: 1024
    .name:           _Z7sosfiltIfEviiiiPKT_S2_PS0_
    .private_segment_fixed_size: 0
    .sgpr_count:     23
    .sgpr_spill_count: 0
    .symbol:         _Z7sosfiltIfEviiiiPKT_S2_PS0_.kd
    .uniform_work_group_size: 1
    .uses_dynamic_stack: false
    .vgpr_count:     14
    .vgpr_spill_count: 0
    .wavefront_size: 64
  - .agpr_count:     0
    .args:
      - .offset:         0
        .size:           4
        .value_kind:     by_value
      - .offset:         4
        .size:           4
        .value_kind:     by_value
      - .offset:         8
        .size:           4
        .value_kind:     by_value
      - .offset:         12
        .size:           4
        .value_kind:     by_value
      - .actual_access:  read_only
        .address_space:  global
        .offset:         16
        .size:           8
        .value_kind:     global_buffer
      - .actual_access:  read_only
        .address_space:  global
        .offset:         24
        .size:           8
        .value_kind:     global_buffer
      - .address_space:  global
        .offset:         32
        .size:           8
        .value_kind:     global_buffer
    .group_segment_fixed_size: 0
    .kernarg_segment_align: 8
    .kernarg_segment_size: 40
    .language:       OpenCL C
    .language_version:
      - 2
      - 0
    .max_flat_workgroup_size: 1024
    .name:           _Z7sosfiltIdEviiiiPKT_S2_PS0_
    .private_segment_fixed_size: 0
    .sgpr_count:     22
    .sgpr_spill_count: 0
    .symbol:         _Z7sosfiltIdEviiiiPKT_S2_PS0_.kd
    .uniform_work_group_size: 1
    .uses_dynamic_stack: false
    .vgpr_count:     20
    .vgpr_spill_count: 0
    .wavefront_size: 64
amdhsa.target:   amdgcn-amd-amdhsa--gfx950
amdhsa.version:
  - 1
  - 2
...

	.end_amdgpu_metadata
